;; amdgpu-corpus repo=ROCm/hipCUB kind=compiled arch=gfx906 opt=O3
	.amdgcn_target "amdgcn-amd-amdhsa--gfx906"
	.amdhsa_code_object_version 6
	.section	.text._Z30block_run_length_decode_kernelIiiLj128ELj2ELj4ELj100EEvPKT_PKT0_PS0_b,"axG",@progbits,_Z30block_run_length_decode_kernelIiiLj128ELj2ELj4ELj100EEvPKT_PKT0_PS0_b,comdat
	.protected	_Z30block_run_length_decode_kernelIiiLj128ELj2ELj4ELj100EEvPKT_PKT0_PS0_b ; -- Begin function _Z30block_run_length_decode_kernelIiiLj128ELj2ELj4ELj100EEvPKT_PKT0_PS0_b
	.globl	_Z30block_run_length_decode_kernelIiiLj128ELj2ELj4ELj100EEvPKT_PKT0_PS0_b
	.p2align	8
	.type	_Z30block_run_length_decode_kernelIiiLj128ELj2ELj4ELj100EEvPKT_PKT0_PS0_b,@function
_Z30block_run_length_decode_kernelIiiLj128ELj2ELj4ELj100EEvPKT_PKT0_PS0_b: ; @_Z30block_run_length_decode_kernelIiiLj128ELj2ELj4ELj100EEvPKT_PKT0_PS0_b
; %bb.0:
	s_load_dwordx4 s[0:3], s[4:5], 0x0
	s_load_dwordx2 s[8:9], s[4:5], 0x10
	v_lshl_or_b32 v7, s6, 7, v0
	v_lshlrev_b32_e32 v1, 1, v7
	v_mov_b32_e32 v2, 0
	v_lshlrev_b64 v[3:4], 2, v[1:2]
	s_waitcnt lgkmcnt(0)
	v_mov_b32_e32 v1, s1
	v_add_co_u32_e32 v5, vcc, s0, v3
	v_addc_co_u32_e32 v6, vcc, v1, v4, vcc
	v_mov_b32_e32 v1, s3
	v_add_co_u32_e32 v3, vcc, s2, v3
	v_addc_co_u32_e32 v4, vcc, v1, v4, vcc
	global_load_dwordx2 v[5:6], v[5:6], off
	s_load_dword s0, s[4:5], 0x18
	global_load_dwordx2 v[3:4], v[3:4], off
	v_lshlrev_b32_e32 v1, 2, v7
	v_lshlrev_b32_e32 v12, 3, v0
	;; [unrolled: 1-line block ×3, first 2 shown]
	s_waitcnt lgkmcnt(0)
	s_bitcmp1_b32 s0, 0
	v_lshlrev_b64 v[0:1], 2, v[1:2]
	s_cselect_b64 s[4:5], -1, 0
	s_lshl_b32 s0, s6, 8
	s_mov_b32 s7, 0
	s_add_i32 s6, s0, 0x100
	v_mov_b32_e32 v7, s9
	v_add_co_u32_e32 v0, vcc, s8, v0
	s_lshl_b64 s[8:9], s[6:7], 2
	s_mov_b32 s1, s7
	s_add_u32 s8, s2, s8
	s_addc_u32 s9, s3, s9
	s_lshl_b64 s[0:1], s[0:1], 2
	s_add_u32 s0, s2, s0
	s_addc_u32 s1, s3, s1
	v_addc_co_u32_e32 v1, vcc, v7, v1, vcc
	s_movk_i32 s10, 0xff
	v_mov_b32_e32 v8, 0x81
	v_mov_b32_e32 v9, 0x100
	;; [unrolled: 1-line block ×4, first 2 shown]
	s_waitcnt vmcnt(0)
	ds_write2st64_b64 v12, v[5:6], v[3:4] offset1:2
	s_waitcnt lgkmcnt(0)
	s_barrier
	s_load_dword s2, s[8:9], 0x0
	s_load_dword s3, s[0:1], 0x0
	ds_read_b32 v12, v2 offset:1536
	v_add_co_u32_e32 v4, vcc, 8, v0
	v_addc_co_u32_e32 v5, vcc, 0, v1, vcc
	s_waitcnt lgkmcnt(0)
	s_sub_i32 s6, s2, s3
	s_cmp_gt_i32 s6, 0
	s_cselect_b64 s[0:1], -1, 0
	v_cndmask_b32_e64 v0, 0, 1, s[0:1]
	v_cmp_ne_u32_e64 s[0:1], 1, v0
	s_branch .LBB0_2
.LBB0_1:                                ;   in Loop: Header=BB0_2 Depth=1
	s_add_i32 s7, s7, 1
	s_cmpk_eq_i32 s7, 0x64
	s_cbranch_scc1 .LBB0_25
.LBB0_2:                                ; =>This Loop Header: Depth=1
                                        ;     Child Loop BB0_5 Depth 2
	s_and_b64 vcc, exec, s[0:1]
	s_cbranch_vccnz .LBB0_1
; %bb.3:                                ;   in Loop: Header=BB0_2 Depth=1
	v_mov_b32_e32 v7, v5
	s_mov_b32 s11, 0
	v_mov_b32_e32 v6, v4
	s_branch .LBB0_5
.LBB0_4:                                ;   in Loop: Header=BB0_5 Depth=2
	s_addk_i32 s11, 0x200
	v_add_co_u32_e32 v6, vcc, 0x800, v6
	s_cmp_lt_i32 s11, s6
	v_addc_co_u32_e32 v7, vcc, 0, v7, vcc
	s_cbranch_scc0 .LBB0_1
.LBB0_5:                                ;   Parent Loop BB0_2 Depth=1
                                        ; =>  This Inner Loop Header: Depth=2
	s_waitcnt lgkmcnt(0)
	v_add_u32_e32 v3, s11, v11
	v_cmp_lt_u32_e32 vcc, v3, v12
	v_cndmask_b32_e64 v1, v13, 64, vcc
	v_lshlrev_b32_e32 v2, 2, v1
	ds_read_b32 v2, v2 offset:1024
	v_cndmask_b32_e64 v0, v8, 0, vcc
	v_cndmask_b32_e32 v14, v9, v10, vcc
	v_or_b32_e32 v15, 1, v1
	s_waitcnt lgkmcnt(0)
	v_cmp_lt_u32_e32 vcc, v3, v2
	v_cndmask_b32_e32 v0, v15, v0, vcc
	v_cndmask_b32_e32 v1, v14, v1, vcc
	v_sub_u32_e32 v2, v1, v0
	v_lshrrev_b16_e32 v14, 15, v2
	v_add_u16_e32 v2, v2, v14
	v_ashrrev_i16_e32 v2, 1, v2
	v_add_u32_sdwa v2, v0, sext(v2) dst_sel:DWORD dst_unused:UNUSED_PAD src0_sel:DWORD src1_sel:WORD_0
	v_min_i32_e32 v2, 0xff, v2
	v_lshlrev_b32_e32 v14, 2, v2
	ds_read_b32 v14, v14 offset:1024
	v_add_u32_e32 v15, 1, v2
	s_waitcnt lgkmcnt(0)
	v_cmp_lt_u32_e32 vcc, v3, v14
	v_cndmask_b32_e32 v0, v15, v0, vcc
	v_cndmask_b32_e32 v1, v1, v2, vcc
	v_sub_u32_e32 v2, v1, v0
	v_lshrrev_b16_e32 v14, 15, v2
	v_add_u16_e32 v2, v2, v14
	v_ashrrev_i16_e32 v2, 1, v2
	v_add_u32_sdwa v2, v0, sext(v2) dst_sel:DWORD dst_unused:UNUSED_PAD src0_sel:DWORD src1_sel:WORD_0
	v_min_i32_e32 v2, 0xff, v2
	v_lshlrev_b32_e32 v14, 2, v2
	ds_read_b32 v14, v14 offset:1024
	v_add_u32_e32 v15, 1, v2
	;; [unrolled: 13-line block ×7, first 2 shown]
	s_waitcnt lgkmcnt(0)
	v_cmp_lt_u32_e32 vcc, v3, v2
	v_cndmask_b32_e32 v2, v1, v0, vcc
	v_add_u32_e32 v14, -1, v2
	v_cmp_ne_u32_e32 vcc, s10, v14
	v_lshlrev_b32_e32 v15, 2, v2
                                        ; implicit-def: $vgpr1
	s_and_saveexec_b64 s[2:3], vcc
	s_xor_b64 s[2:3], exec, s[2:3]
; %bb.6:                                ;   in Loop: Header=BB0_5 Depth=2
	ds_read_b32 v1, v15 offset:1024
; %bb.7:                                ;   in Loop: Header=BB0_5 Depth=2
	s_andn2_saveexec_b64 s[2:3], s[2:3]
	s_cbranch_execz .LBB0_9
; %bb.8:                                ;   in Loop: Header=BB0_5 Depth=2
	s_waitcnt lgkmcnt(0)
	v_add_u32_e32 v1, 4, v3
.LBB0_9:                                ;   in Loop: Header=BB0_5 Depth=2
	s_or_b64 exec, exec, s[2:3]
	v_lshlrev_b32_e32 v0, 2, v14
	ds_read_b32 v0, v0
	s_waitcnt lgkmcnt(1)
	v_add_u32_e32 v16, -1, v1
	v_cmp_eq_u32_e32 vcc, v3, v16
	s_waitcnt lgkmcnt(0)
	v_mov_b32_e32 v1, v0
	s_and_saveexec_b64 s[2:3], vcc
	s_cbranch_execz .LBB0_15
; %bb.10:                               ;   in Loop: Header=BB0_5 Depth=2
	v_cmp_ne_u32_e32 vcc, s10, v2
                                        ; implicit-def: $vgpr14
	s_and_saveexec_b64 s[8:9], vcc
	s_xor_b64 s[8:9], exec, s[8:9]
; %bb.11:                               ;   in Loop: Header=BB0_5 Depth=2
	ds_read_b32 v14, v15 offset:1028
; %bb.12:                               ;   in Loop: Header=BB0_5 Depth=2
	s_andn2_saveexec_b64 s[8:9], s[8:9]
	s_cbranch_execz .LBB0_14
; %bb.13:                               ;   in Loop: Header=BB0_5 Depth=2
	s_waitcnt lgkmcnt(0)
	v_add_u32_e32 v14, 4, v3
.LBB0_14:                               ;   in Loop: Header=BB0_5 Depth=2
	s_or_b64 exec, exec, s[8:9]
	ds_read_b32 v1, v15
	s_waitcnt lgkmcnt(1)
	v_add_u32_e32 v16, -1, v14
	v_mov_b32_e32 v14, v2
.LBB0_15:                               ;   in Loop: Header=BB0_5 Depth=2
	s_or_b64 exec, exec, s[2:3]
	v_add_u32_e32 v2, 1, v3
	v_cmp_eq_u32_e32 vcc, v2, v16
	s_waitcnt lgkmcnt(0)
	v_mov_b32_e32 v2, v1
	s_and_saveexec_b64 s[2:3], vcc
	s_cbranch_execz .LBB0_21
; %bb.16:                               ;   in Loop: Header=BB0_5 Depth=2
	v_add_u32_e32 v15, 1, v14
	v_cmp_ne_u32_e32 vcc, s10, v15
	v_lshlrev_b32_e32 v2, 2, v14
                                        ; implicit-def: $vgpr14
	s_and_saveexec_b64 s[8:9], vcc
	s_xor_b64 s[8:9], exec, s[8:9]
; %bb.17:                               ;   in Loop: Header=BB0_5 Depth=2
	ds_read_b32 v14, v2 offset:1032
; %bb.18:                               ;   in Loop: Header=BB0_5 Depth=2
	s_andn2_saveexec_b64 s[8:9], s[8:9]
	s_cbranch_execz .LBB0_20
; %bb.19:                               ;   in Loop: Header=BB0_5 Depth=2
	s_waitcnt lgkmcnt(0)
	v_add_u32_e32 v14, 5, v3
.LBB0_20:                               ;   in Loop: Header=BB0_5 Depth=2
	s_or_b64 exec, exec, s[8:9]
	ds_read_b32 v2, v2 offset:4
	s_waitcnt lgkmcnt(1)
	v_add_u32_e32 v16, -1, v14
	v_mov_b32_e32 v14, v15
.LBB0_21:                               ;   in Loop: Header=BB0_5 Depth=2
	s_or_b64 exec, exec, s[2:3]
	v_add_u32_e32 v3, 2, v3
	v_cmp_eq_u32_e32 vcc, v3, v16
	s_waitcnt lgkmcnt(0)
	v_mov_b32_e32 v3, v2
	s_and_saveexec_b64 s[2:3], vcc
; %bb.22:                               ;   in Loop: Header=BB0_5 Depth=2
	v_lshlrev_b32_e32 v3, 2, v14
	ds_read_b32 v3, v3 offset:4
; %bb.23:                               ;   in Loop: Header=BB0_5 Depth=2
	s_or_b64 exec, exec, s[2:3]
	s_andn2_b64 vcc, exec, s[4:5]
	s_cbranch_vccnz .LBB0_4
; %bb.24:                               ;   in Loop: Header=BB0_5 Depth=2
	s_waitcnt lgkmcnt(0)
	global_store_dwordx4 v[6:7], v[0:3], off offset:-8
	s_branch .LBB0_4
.LBB0_25:
	s_endpgm
	.section	.rodata,"a",@progbits
	.p2align	6, 0x0
	.amdhsa_kernel _Z30block_run_length_decode_kernelIiiLj128ELj2ELj4ELj100EEvPKT_PKT0_PS0_b
		.amdhsa_group_segment_fixed_size 2048
		.amdhsa_private_segment_fixed_size 0
		.amdhsa_kernarg_size 28
		.amdhsa_user_sgpr_count 6
		.amdhsa_user_sgpr_private_segment_buffer 1
		.amdhsa_user_sgpr_dispatch_ptr 0
		.amdhsa_user_sgpr_queue_ptr 0
		.amdhsa_user_sgpr_kernarg_segment_ptr 1
		.amdhsa_user_sgpr_dispatch_id 0
		.amdhsa_user_sgpr_flat_scratch_init 0
		.amdhsa_user_sgpr_private_segment_size 0
		.amdhsa_uses_dynamic_stack 0
		.amdhsa_system_sgpr_private_segment_wavefront_offset 0
		.amdhsa_system_sgpr_workgroup_id_x 1
		.amdhsa_system_sgpr_workgroup_id_y 0
		.amdhsa_system_sgpr_workgroup_id_z 0
		.amdhsa_system_sgpr_workgroup_info 0
		.amdhsa_system_vgpr_workitem_id 0
		.amdhsa_next_free_vgpr 29
		.amdhsa_next_free_sgpr 61
		.amdhsa_reserve_vcc 1
		.amdhsa_reserve_flat_scratch 0
		.amdhsa_float_round_mode_32 0
		.amdhsa_float_round_mode_16_64 0
		.amdhsa_float_denorm_mode_32 3
		.amdhsa_float_denorm_mode_16_64 3
		.amdhsa_dx10_clamp 1
		.amdhsa_ieee_mode 1
		.amdhsa_fp16_overflow 0
		.amdhsa_exception_fp_ieee_invalid_op 0
		.amdhsa_exception_fp_denorm_src 0
		.amdhsa_exception_fp_ieee_div_zero 0
		.amdhsa_exception_fp_ieee_overflow 0
		.amdhsa_exception_fp_ieee_underflow 0
		.amdhsa_exception_fp_ieee_inexact 0
		.amdhsa_exception_int_div_zero 0
	.end_amdhsa_kernel
	.section	.text._Z30block_run_length_decode_kernelIiiLj128ELj2ELj4ELj100EEvPKT_PKT0_PS0_b,"axG",@progbits,_Z30block_run_length_decode_kernelIiiLj128ELj2ELj4ELj100EEvPKT_PKT0_PS0_b,comdat
.Lfunc_end0:
	.size	_Z30block_run_length_decode_kernelIiiLj128ELj2ELj4ELj100EEvPKT_PKT0_PS0_b, .Lfunc_end0-_Z30block_run_length_decode_kernelIiiLj128ELj2ELj4ELj100EEvPKT_PKT0_PS0_b
                                        ; -- End function
	.set _Z30block_run_length_decode_kernelIiiLj128ELj2ELj4ELj100EEvPKT_PKT0_PS0_b.num_vgpr, 17
	.set _Z30block_run_length_decode_kernelIiiLj128ELj2ELj4ELj100EEvPKT_PKT0_PS0_b.num_agpr, 0
	.set _Z30block_run_length_decode_kernelIiiLj128ELj2ELj4ELj100EEvPKT_PKT0_PS0_b.numbered_sgpr, 12
	.set _Z30block_run_length_decode_kernelIiiLj128ELj2ELj4ELj100EEvPKT_PKT0_PS0_b.num_named_barrier, 0
	.set _Z30block_run_length_decode_kernelIiiLj128ELj2ELj4ELj100EEvPKT_PKT0_PS0_b.private_seg_size, 0
	.set _Z30block_run_length_decode_kernelIiiLj128ELj2ELj4ELj100EEvPKT_PKT0_PS0_b.uses_vcc, 1
	.set _Z30block_run_length_decode_kernelIiiLj128ELj2ELj4ELj100EEvPKT_PKT0_PS0_b.uses_flat_scratch, 0
	.set _Z30block_run_length_decode_kernelIiiLj128ELj2ELj4ELj100EEvPKT_PKT0_PS0_b.has_dyn_sized_stack, 0
	.set _Z30block_run_length_decode_kernelIiiLj128ELj2ELj4ELj100EEvPKT_PKT0_PS0_b.has_recursion, 0
	.set _Z30block_run_length_decode_kernelIiiLj128ELj2ELj4ELj100EEvPKT_PKT0_PS0_b.has_indirect_call, 0
	.section	.AMDGPU.csdata,"",@progbits
; Kernel info:
; codeLenInByte = 1184
; TotalNumSgprs: 16
; NumVgprs: 17
; ScratchSize: 0
; MemoryBound: 0
; FloatMode: 240
; IeeeMode: 1
; LDSByteSize: 2048 bytes/workgroup (compile time only)
; SGPRBlocks: 8
; VGPRBlocks: 7
; NumSGPRsForWavesPerEU: 65
; NumVGPRsForWavesPerEU: 29
; Occupancy: 8
; WaveLimiterHint : 0
; COMPUTE_PGM_RSRC2:SCRATCH_EN: 0
; COMPUTE_PGM_RSRC2:USER_SGPR: 6
; COMPUTE_PGM_RSRC2:TRAP_HANDLER: 0
; COMPUTE_PGM_RSRC2:TGID_X_EN: 1
; COMPUTE_PGM_RSRC2:TGID_Y_EN: 0
; COMPUTE_PGM_RSRC2:TGID_Z_EN: 0
; COMPUTE_PGM_RSRC2:TIDIG_COMP_CNT: 0
	.section	.text._Z30block_run_length_decode_kernelIdxLj128ELj2ELj4ELj100EEvPKT_PKT0_PS0_b,"axG",@progbits,_Z30block_run_length_decode_kernelIdxLj128ELj2ELj4ELj100EEvPKT_PKT0_PS0_b,comdat
	.protected	_Z30block_run_length_decode_kernelIdxLj128ELj2ELj4ELj100EEvPKT_PKT0_PS0_b ; -- Begin function _Z30block_run_length_decode_kernelIdxLj128ELj2ELj4ELj100EEvPKT_PKT0_PS0_b
	.globl	_Z30block_run_length_decode_kernelIdxLj128ELj2ELj4ELj100EEvPKT_PKT0_PS0_b
	.p2align	8
	.type	_Z30block_run_length_decode_kernelIdxLj128ELj2ELj4ELj100EEvPKT_PKT0_PS0_b,@function
_Z30block_run_length_decode_kernelIdxLj128ELj2ELj4ELj100EEvPKT_PKT0_PS0_b: ; @_Z30block_run_length_decode_kernelIdxLj128ELj2ELj4ELj100EEvPKT_PKT0_PS0_b
; %bb.0:
	s_load_dwordx4 s[0:3], s[4:5], 0x0
	s_load_dwordx2 s[8:9], s[4:5], 0x10
	v_lshl_or_b32 v11, s6, 7, v0
	v_lshlrev_b32_e32 v9, 1, v11
	v_mov_b32_e32 v10, 0
	v_lshlrev_b64 v[5:6], 3, v[9:10]
	s_waitcnt lgkmcnt(0)
	v_mov_b32_e32 v2, s1
	v_add_co_u32_e32 v1, vcc, s0, v5
	v_addc_co_u32_e32 v2, vcc, v2, v6, vcc
	v_mov_b32_e32 v7, s3
	v_add_co_u32_e32 v5, vcc, s2, v5
	global_load_dwordx4 v[1:4], v[1:2], off
	v_addc_co_u32_e32 v6, vcc, v7, v6, vcc
	global_load_dwordx4 v[5:8], v[5:6], off
	s_load_dword s0, s[4:5], 0x18
	s_waitcnt vmcnt(0)
	v_lshlrev_b32_e32 v6, 4, v0
	v_lshlrev_b32_e32 v8, 3, v0
	;; [unrolled: 1-line block ×4, first 2 shown]
	s_waitcnt lgkmcnt(0)
	s_bitcmp1_b32 s0, 0
	v_sub_u32_e32 v0, v6, v8
	v_lshlrev_b64 v[8:9], 3, v[9:10]
	s_cselect_b64 s[4:5], -1, 0
	s_lshl_b32 s0, s6, 8
	s_mov_b32 s7, 0
	s_add_i32 s6, s0, 0x100
	v_mov_b32_e32 v11, s9
	v_add_co_u32_e32 v8, vcc, s8, v8
	s_lshl_b64 s[8:9], s[6:7], 3
	s_mov_b32 s1, s7
	s_add_u32 s8, s2, s8
	s_addc_u32 s9, s3, s9
	s_lshl_b64 s[0:1], s[0:1], 3
	s_add_u32 s0, s2, s0
	s_addc_u32 s1, s3, s1
	v_addc_co_u32_e32 v9, vcc, v11, v9, vcc
	v_add_co_u32_e32 v8, vcc, 16, v8
	s_movk_i32 s14, 0xff
	v_mov_b32_e32 v12, 0x81
	v_mov_b32_e32 v13, 0x100
	v_mov_b32_e32 v14, 0x80
	v_addc_co_u32_e32 v9, vcc, 0, v9, vcc
	v_mov_b32_e32 v17, 0xc0
	ds_write_b64 v6, v[1:2]
	ds_write_b32 v0, v5 offset:2048
	ds_write_b64 v6, v[3:4] offset:8
	ds_write_b32 v0, v7 offset:2052
	s_waitcnt lgkmcnt(0)
	s_barrier
	s_load_dwordx2 s[2:3], s[8:9], 0x0
	s_load_dwordx2 s[10:11], s[0:1], 0x0
	ds_read_b32 v16, v10 offset:2560
	s_waitcnt lgkmcnt(0)
	s_sub_u32 s8, s2, s10
	s_subb_u32 s9, s3, s11
	v_cmp_gt_i64_e64 s[0:1], s[8:9], 0
	v_cndmask_b32_e64 v0, 0, 1, s[0:1]
	v_cmp_ne_u32_e64 s[0:1], 1, v0
	s_branch .LBB1_2
.LBB1_1:                                ;   in Loop: Header=BB1_2 Depth=1
	s_add_i32 s7, s7, 1
	s_cmpk_eq_i32 s7, 0x64
	s_cbranch_scc1 .LBB1_25
.LBB1_2:                                ; =>This Loop Header: Depth=1
                                        ;     Child Loop BB1_5 Depth 2
	s_and_b64 vcc, exec, s[0:1]
	s_cbranch_vccnz .LBB1_1
; %bb.3:                                ;   in Loop: Header=BB1_2 Depth=1
	v_mov_b32_e32 v11, v9
	s_mov_b64 s[10:11], 0
	v_mov_b32_e32 v10, v8
	s_branch .LBB1_5
.LBB1_4:                                ;   in Loop: Header=BB1_5 Depth=2
	s_add_u32 s10, s10, 0x200
	v_mov_b32_e32 v0, s8
	s_addc_u32 s11, s11, 0
	v_mov_b32_e32 v1, s9
	v_add_co_u32_e32 v10, vcc, 0x1000, v10
	v_cmp_lt_i64_e64 s[2:3], s[10:11], v[0:1]
	v_addc_co_u32_e32 v11, vcc, 0, v11, vcc
	s_and_b64 vcc, exec, s[2:3]
	s_cbranch_vccz .LBB1_1
.LBB1_5:                                ;   Parent Loop BB1_2 Depth=1
                                        ; =>  This Inner Loop Header: Depth=2
	s_waitcnt lgkmcnt(0)
	v_add_co_u32_e32 v6, vcc, s10, v15
	v_cmp_lt_u32_e32 vcc, v6, v16
	v_cndmask_b32_e64 v1, v17, 64, vcc
	v_lshlrev_b32_e32 v2, 2, v1
	ds_read_b32 v2, v2 offset:2048
	v_cndmask_b32_e64 v0, v12, 0, vcc
	v_cndmask_b32_e32 v3, v13, v14, vcc
	v_or_b32_e32 v4, 1, v1
	s_waitcnt lgkmcnt(0)
	v_cmp_lt_u32_e32 vcc, v6, v2
	v_cndmask_b32_e32 v0, v4, v0, vcc
	v_cndmask_b32_e32 v1, v3, v1, vcc
	v_sub_u32_e32 v2, v1, v0
	v_lshrrev_b16_e32 v3, 15, v2
	v_add_u16_e32 v2, v2, v3
	v_ashrrev_i16_e32 v2, 1, v2
	v_add_u32_sdwa v2, v0, sext(v2) dst_sel:DWORD dst_unused:UNUSED_PAD src0_sel:DWORD src1_sel:WORD_0
	v_min_i32_e32 v2, 0xff, v2
	v_lshlrev_b32_e32 v3, 2, v2
	ds_read_b32 v3, v3 offset:2048
	v_add_u32_e32 v4, 1, v2
	s_waitcnt lgkmcnt(0)
	v_cmp_lt_u32_e32 vcc, v6, v3
	v_cndmask_b32_e32 v0, v4, v0, vcc
	v_cndmask_b32_e32 v1, v1, v2, vcc
	v_sub_u32_e32 v2, v1, v0
	v_lshrrev_b16_e32 v3, 15, v2
	v_add_u16_e32 v2, v2, v3
	v_ashrrev_i16_e32 v2, 1, v2
	v_add_u32_sdwa v2, v0, sext(v2) dst_sel:DWORD dst_unused:UNUSED_PAD src0_sel:DWORD src1_sel:WORD_0
	v_min_i32_e32 v2, 0xff, v2
	v_lshlrev_b32_e32 v3, 2, v2
	ds_read_b32 v3, v3 offset:2048
	v_add_u32_e32 v4, 1, v2
	;; [unrolled: 13-line block ×7, first 2 shown]
	s_waitcnt lgkmcnt(0)
	v_cmp_lt_u32_e32 vcc, v6, v2
	v_cndmask_b32_e32 v4, v1, v0, vcc
	v_add_u32_e32 v18, -1, v4
	v_cmp_ne_u32_e32 vcc, s14, v18
                                        ; implicit-def: $vgpr2
	s_and_saveexec_b64 s[2:3], vcc
	s_xor_b64 s[2:3], exec, s[2:3]
; %bb.6:                                ;   in Loop: Header=BB1_5 Depth=2
	v_lshlrev_b32_e32 v0, 2, v4
	ds_read_b32 v2, v0 offset:2048
; %bb.7:                                ;   in Loop: Header=BB1_5 Depth=2
	s_andn2_saveexec_b64 s[2:3], s[2:3]
	s_cbranch_execz .LBB1_9
; %bb.8:                                ;   in Loop: Header=BB1_5 Depth=2
	s_waitcnt lgkmcnt(0)
	v_add_u32_e32 v2, 4, v6
.LBB1_9:                                ;   in Loop: Header=BB1_5 Depth=2
	s_or_b64 exec, exec, s[2:3]
	v_lshlrev_b32_e32 v0, 3, v18
	ds_read_b64 v[0:1], v0
	s_waitcnt lgkmcnt(1)
	v_add_u32_e32 v7, -1, v2
	v_cmp_eq_u32_e32 vcc, v6, v7
	s_waitcnt lgkmcnt(0)
	v_mov_b32_e32 v3, v1
	v_mov_b32_e32 v2, v0
	s_and_saveexec_b64 s[2:3], vcc
	s_cbranch_execz .LBB1_15
; %bb.10:                               ;   in Loop: Header=BB1_5 Depth=2
	v_cmp_ne_u32_e32 vcc, s14, v4
                                        ; implicit-def: $vgpr5
	s_and_saveexec_b64 s[12:13], vcc
	s_xor_b64 s[12:13], exec, s[12:13]
; %bb.11:                               ;   in Loop: Header=BB1_5 Depth=2
	v_lshlrev_b32_e32 v2, 2, v4
	ds_read_b32 v5, v2 offset:2052
; %bb.12:                               ;   in Loop: Header=BB1_5 Depth=2
	s_andn2_saveexec_b64 s[12:13], s[12:13]
	s_cbranch_execz .LBB1_14
; %bb.13:                               ;   in Loop: Header=BB1_5 Depth=2
	s_waitcnt lgkmcnt(0)
	v_add_u32_e32 v5, 4, v6
.LBB1_14:                               ;   in Loop: Header=BB1_5 Depth=2
	s_or_b64 exec, exec, s[12:13]
	v_lshlrev_b32_e32 v2, 3, v4
	ds_read_b64 v[2:3], v2
	s_waitcnt lgkmcnt(1)
	v_add_u32_e32 v7, -1, v5
	v_mov_b32_e32 v18, v4
.LBB1_15:                               ;   in Loop: Header=BB1_5 Depth=2
	s_or_b64 exec, exec, s[2:3]
	v_add_u32_e32 v4, 1, v6
	v_cmp_eq_u32_e32 vcc, v4, v7
	s_waitcnt lgkmcnt(0)
	v_mov_b32_e32 v5, v3
	v_mov_b32_e32 v4, v2
	s_and_saveexec_b64 s[2:3], vcc
	s_cbranch_execz .LBB1_21
; %bb.16:                               ;   in Loop: Header=BB1_5 Depth=2
	v_add_u32_e32 v19, 1, v18
	v_cmp_ne_u32_e32 vcc, s14, v19
                                        ; implicit-def: $vgpr7
	s_and_saveexec_b64 s[12:13], vcc
	s_xor_b64 s[12:13], exec, s[12:13]
; %bb.17:                               ;   in Loop: Header=BB1_5 Depth=2
	v_lshlrev_b32_e32 v4, 2, v18
	ds_read_b32 v7, v4 offset:2056
; %bb.18:                               ;   in Loop: Header=BB1_5 Depth=2
	s_andn2_saveexec_b64 s[12:13], s[12:13]
	s_cbranch_execz .LBB1_20
; %bb.19:                               ;   in Loop: Header=BB1_5 Depth=2
	s_waitcnt lgkmcnt(0)
	v_add_u32_e32 v7, 5, v6
.LBB1_20:                               ;   in Loop: Header=BB1_5 Depth=2
	s_or_b64 exec, exec, s[12:13]
	v_lshlrev_b32_e32 v4, 3, v18
	ds_read_b64 v[4:5], v4 offset:8
	s_waitcnt lgkmcnt(1)
	v_add_u32_e32 v7, -1, v7
	v_mov_b32_e32 v18, v19
.LBB1_21:                               ;   in Loop: Header=BB1_5 Depth=2
	s_or_b64 exec, exec, s[2:3]
	v_add_u32_e32 v6, 2, v6
	v_cmp_eq_u32_e32 vcc, v6, v7
	s_waitcnt lgkmcnt(0)
	v_mov_b32_e32 v7, v5
	v_mov_b32_e32 v6, v4
	s_and_saveexec_b64 s[2:3], vcc
; %bb.22:                               ;   in Loop: Header=BB1_5 Depth=2
	v_lshlrev_b32_e32 v6, 3, v18
	ds_read_b64 v[6:7], v6 offset:8
; %bb.23:                               ;   in Loop: Header=BB1_5 Depth=2
	s_or_b64 exec, exec, s[2:3]
	s_andn2_b64 vcc, exec, s[4:5]
	s_cbranch_vccnz .LBB1_4
; %bb.24:                               ;   in Loop: Header=BB1_5 Depth=2
	global_store_dwordx4 v[10:11], v[0:3], off offset:-16
	s_waitcnt lgkmcnt(0)
	global_store_dwordx4 v[10:11], v[4:7], off
	s_branch .LBB1_4
.LBB1_25:
	s_endpgm
	.section	.rodata,"a",@progbits
	.p2align	6, 0x0
	.amdhsa_kernel _Z30block_run_length_decode_kernelIdxLj128ELj2ELj4ELj100EEvPKT_PKT0_PS0_b
		.amdhsa_group_segment_fixed_size 3072
		.amdhsa_private_segment_fixed_size 0
		.amdhsa_kernarg_size 28
		.amdhsa_user_sgpr_count 6
		.amdhsa_user_sgpr_private_segment_buffer 1
		.amdhsa_user_sgpr_dispatch_ptr 0
		.amdhsa_user_sgpr_queue_ptr 0
		.amdhsa_user_sgpr_kernarg_segment_ptr 1
		.amdhsa_user_sgpr_dispatch_id 0
		.amdhsa_user_sgpr_flat_scratch_init 0
		.amdhsa_user_sgpr_private_segment_size 0
		.amdhsa_uses_dynamic_stack 0
		.amdhsa_system_sgpr_private_segment_wavefront_offset 0
		.amdhsa_system_sgpr_workgroup_id_x 1
		.amdhsa_system_sgpr_workgroup_id_y 0
		.amdhsa_system_sgpr_workgroup_id_z 0
		.amdhsa_system_sgpr_workgroup_info 0
		.amdhsa_system_vgpr_workitem_id 0
		.amdhsa_next_free_vgpr 29
		.amdhsa_next_free_sgpr 61
		.amdhsa_reserve_vcc 1
		.amdhsa_reserve_flat_scratch 0
		.amdhsa_float_round_mode_32 0
		.amdhsa_float_round_mode_16_64 0
		.amdhsa_float_denorm_mode_32 3
		.amdhsa_float_denorm_mode_16_64 3
		.amdhsa_dx10_clamp 1
		.amdhsa_ieee_mode 1
		.amdhsa_fp16_overflow 0
		.amdhsa_exception_fp_ieee_invalid_op 0
		.amdhsa_exception_fp_denorm_src 0
		.amdhsa_exception_fp_ieee_div_zero 0
		.amdhsa_exception_fp_ieee_overflow 0
		.amdhsa_exception_fp_ieee_underflow 0
		.amdhsa_exception_fp_ieee_inexact 0
		.amdhsa_exception_int_div_zero 0
	.end_amdhsa_kernel
	.section	.text._Z30block_run_length_decode_kernelIdxLj128ELj2ELj4ELj100EEvPKT_PKT0_PS0_b,"axG",@progbits,_Z30block_run_length_decode_kernelIdxLj128ELj2ELj4ELj100EEvPKT_PKT0_PS0_b,comdat
.Lfunc_end1:
	.size	_Z30block_run_length_decode_kernelIdxLj128ELj2ELj4ELj100EEvPKT_PKT0_PS0_b, .Lfunc_end1-_Z30block_run_length_decode_kernelIdxLj128ELj2ELj4ELj100EEvPKT_PKT0_PS0_b
                                        ; -- End function
	.set _Z30block_run_length_decode_kernelIdxLj128ELj2ELj4ELj100EEvPKT_PKT0_PS0_b.num_vgpr, 20
	.set _Z30block_run_length_decode_kernelIdxLj128ELj2ELj4ELj100EEvPKT_PKT0_PS0_b.num_agpr, 0
	.set _Z30block_run_length_decode_kernelIdxLj128ELj2ELj4ELj100EEvPKT_PKT0_PS0_b.numbered_sgpr, 15
	.set _Z30block_run_length_decode_kernelIdxLj128ELj2ELj4ELj100EEvPKT_PKT0_PS0_b.num_named_barrier, 0
	.set _Z30block_run_length_decode_kernelIdxLj128ELj2ELj4ELj100EEvPKT_PKT0_PS0_b.private_seg_size, 0
	.set _Z30block_run_length_decode_kernelIdxLj128ELj2ELj4ELj100EEvPKT_PKT0_PS0_b.uses_vcc, 1
	.set _Z30block_run_length_decode_kernelIdxLj128ELj2ELj4ELj100EEvPKT_PKT0_PS0_b.uses_flat_scratch, 0
	.set _Z30block_run_length_decode_kernelIdxLj128ELj2ELj4ELj100EEvPKT_PKT0_PS0_b.has_dyn_sized_stack, 0
	.set _Z30block_run_length_decode_kernelIdxLj128ELj2ELj4ELj100EEvPKT_PKT0_PS0_b.has_recursion, 0
	.set _Z30block_run_length_decode_kernelIdxLj128ELj2ELj4ELj100EEvPKT_PKT0_PS0_b.has_indirect_call, 0
	.section	.AMDGPU.csdata,"",@progbits
; Kernel info:
; codeLenInByte = 1276
; TotalNumSgprs: 19
; NumVgprs: 20
; ScratchSize: 0
; MemoryBound: 0
; FloatMode: 240
; IeeeMode: 1
; LDSByteSize: 3072 bytes/workgroup (compile time only)
; SGPRBlocks: 8
; VGPRBlocks: 7
; NumSGPRsForWavesPerEU: 65
; NumVGPRsForWavesPerEU: 29
; Occupancy: 8
; WaveLimiterHint : 0
; COMPUTE_PGM_RSRC2:SCRATCH_EN: 0
; COMPUTE_PGM_RSRC2:USER_SGPR: 6
; COMPUTE_PGM_RSRC2:TRAP_HANDLER: 0
; COMPUTE_PGM_RSRC2:TGID_X_EN: 1
; COMPUTE_PGM_RSRC2:TGID_Y_EN: 0
; COMPUTE_PGM_RSRC2:TGID_Z_EN: 0
; COMPUTE_PGM_RSRC2:TIDIG_COMP_CNT: 0
	.section	.AMDGPU.gpr_maximums,"",@progbits
	.set amdgpu.max_num_vgpr, 0
	.set amdgpu.max_num_agpr, 0
	.set amdgpu.max_num_sgpr, 0
	.section	.AMDGPU.csdata,"",@progbits
	.type	__hip_cuid_ce9b3b8a132d099d,@object ; @__hip_cuid_ce9b3b8a132d099d
	.section	.bss,"aw",@nobits
	.globl	__hip_cuid_ce9b3b8a132d099d
__hip_cuid_ce9b3b8a132d099d:
	.byte	0                               ; 0x0
	.size	__hip_cuid_ce9b3b8a132d099d, 1

	.ident	"AMD clang version 22.0.0git (https://github.com/RadeonOpenCompute/llvm-project roc-7.2.4 26084 f58b06dce1f9c15707c5f808fd002e18c2accf7e)"
	.section	".note.GNU-stack","",@progbits
	.addrsig
	.addrsig_sym __hip_cuid_ce9b3b8a132d099d
	.amdgpu_metadata
---
amdhsa.kernels:
  - .args:
      - .address_space:  global
        .offset:         0
        .size:           8
        .value_kind:     global_buffer
      - .address_space:  global
        .offset:         8
        .size:           8
        .value_kind:     global_buffer
      - .address_space:  global
        .offset:         16
        .size:           8
        .value_kind:     global_buffer
      - .offset:         24
        .size:           1
        .value_kind:     by_value
    .group_segment_fixed_size: 2048
    .kernarg_segment_align: 8
    .kernarg_segment_size: 28
    .language:       OpenCL C
    .language_version:
      - 2
      - 0
    .max_flat_workgroup_size: 128
    .name:           _Z30block_run_length_decode_kernelIiiLj128ELj2ELj4ELj100EEvPKT_PKT0_PS0_b
    .private_segment_fixed_size: 0
    .sgpr_count:     16
    .sgpr_spill_count: 0
    .symbol:         _Z30block_run_length_decode_kernelIiiLj128ELj2ELj4ELj100EEvPKT_PKT0_PS0_b.kd
    .uniform_work_group_size: 1
    .uses_dynamic_stack: false
    .vgpr_count:     17
    .vgpr_spill_count: 0
    .wavefront_size: 64
  - .args:
      - .address_space:  global
        .offset:         0
        .size:           8
        .value_kind:     global_buffer
      - .address_space:  global
        .offset:         8
        .size:           8
        .value_kind:     global_buffer
      - .address_space:  global
        .offset:         16
        .size:           8
        .value_kind:     global_buffer
      - .offset:         24
        .size:           1
        .value_kind:     by_value
    .group_segment_fixed_size: 3072
    .kernarg_segment_align: 8
    .kernarg_segment_size: 28
    .language:       OpenCL C
    .language_version:
      - 2
      - 0
    .max_flat_workgroup_size: 128
    .name:           _Z30block_run_length_decode_kernelIdxLj128ELj2ELj4ELj100EEvPKT_PKT0_PS0_b
    .private_segment_fixed_size: 0
    .sgpr_count:     19
    .sgpr_spill_count: 0
    .symbol:         _Z30block_run_length_decode_kernelIdxLj128ELj2ELj4ELj100EEvPKT_PKT0_PS0_b.kd
    .uniform_work_group_size: 1
    .uses_dynamic_stack: false
    .vgpr_count:     20
    .vgpr_spill_count: 0
    .wavefront_size: 64
amdhsa.target:   amdgcn-amd-amdhsa--gfx906
amdhsa.version:
  - 1
  - 2
...

	.end_amdgpu_metadata
